;; amdgpu-corpus repo=ROCm/rocFFT kind=compiled arch=gfx906 opt=O3
	.text
	.amdgcn_target "amdgcn-amd-amdhsa--gfx906"
	.amdhsa_code_object_version 6
	.protected	fft_rtc_fwd_len484_factors_4_11_11_wgs_44_tpt_44_sp_op_CI_CI_unitstride_sbrr_R2C_dirReg ; -- Begin function fft_rtc_fwd_len484_factors_4_11_11_wgs_44_tpt_44_sp_op_CI_CI_unitstride_sbrr_R2C_dirReg
	.globl	fft_rtc_fwd_len484_factors_4_11_11_wgs_44_tpt_44_sp_op_CI_CI_unitstride_sbrr_R2C_dirReg
	.p2align	8
	.type	fft_rtc_fwd_len484_factors_4_11_11_wgs_44_tpt_44_sp_op_CI_CI_unitstride_sbrr_R2C_dirReg,@function
fft_rtc_fwd_len484_factors_4_11_11_wgs_44_tpt_44_sp_op_CI_CI_unitstride_sbrr_R2C_dirReg: ; @fft_rtc_fwd_len484_factors_4_11_11_wgs_44_tpt_44_sp_op_CI_CI_unitstride_sbrr_R2C_dirReg
; %bb.0:
	s_load_dwordx4 s[8:11], s[4:5], 0x58
	s_load_dwordx4 s[12:15], s[4:5], 0x0
	;; [unrolled: 1-line block ×3, first 2 shown]
	v_mul_u32_u24_e32 v1, 0x5d2, v0
	v_add_u32_sdwa v5, s6, v1 dst_sel:DWORD dst_unused:UNUSED_PAD src0_sel:DWORD src1_sel:WORD_1
	v_mov_b32_e32 v3, 0
	s_waitcnt lgkmcnt(0)
	v_cmp_lt_u64_e64 s[0:1], s[14:15], 2
	v_mov_b32_e32 v1, 0
	v_mov_b32_e32 v6, v3
	s_and_b64 vcc, exec, s[0:1]
	v_mov_b32_e32 v2, 0
	s_cbranch_vccnz .LBB0_8
; %bb.1:
	s_load_dwordx2 s[0:1], s[4:5], 0x10
	s_add_u32 s2, s18, 8
	s_addc_u32 s3, s19, 0
	s_add_u32 s6, s16, 8
	v_mov_b32_e32 v1, 0
	s_addc_u32 s7, s17, 0
	v_mov_b32_e32 v2, 0
	s_waitcnt lgkmcnt(0)
	s_add_u32 s20, s0, 8
	v_mov_b32_e32 v15, v2
	s_addc_u32 s21, s1, 0
	s_mov_b64 s[22:23], 1
	v_mov_b32_e32 v14, v1
.LBB0_2:                                ; =>This Inner Loop Header: Depth=1
	s_load_dwordx2 s[24:25], s[20:21], 0x0
                                        ; implicit-def: $vgpr16_vgpr17
	s_waitcnt lgkmcnt(0)
	v_or_b32_e32 v4, s25, v6
	v_cmp_ne_u64_e32 vcc, 0, v[3:4]
	s_and_saveexec_b64 s[0:1], vcc
	s_xor_b64 s[26:27], exec, s[0:1]
	s_cbranch_execz .LBB0_4
; %bb.3:                                ;   in Loop: Header=BB0_2 Depth=1
	v_cvt_f32_u32_e32 v4, s24
	v_cvt_f32_u32_e32 v7, s25
	s_sub_u32 s0, 0, s24
	s_subb_u32 s1, 0, s25
	v_mac_f32_e32 v4, 0x4f800000, v7
	v_rcp_f32_e32 v4, v4
	v_mul_f32_e32 v4, 0x5f7ffffc, v4
	v_mul_f32_e32 v7, 0x2f800000, v4
	v_trunc_f32_e32 v7, v7
	v_mac_f32_e32 v4, 0xcf800000, v7
	v_cvt_u32_f32_e32 v7, v7
	v_cvt_u32_f32_e32 v4, v4
	v_mul_lo_u32 v8, s0, v7
	v_mul_hi_u32 v9, s0, v4
	v_mul_lo_u32 v11, s1, v4
	v_mul_lo_u32 v10, s0, v4
	v_add_u32_e32 v8, v9, v8
	v_add_u32_e32 v8, v8, v11
	v_mul_hi_u32 v9, v4, v10
	v_mul_lo_u32 v11, v4, v8
	v_mul_hi_u32 v13, v4, v8
	v_mul_hi_u32 v12, v7, v10
	v_mul_lo_u32 v10, v7, v10
	v_mul_hi_u32 v16, v7, v8
	v_add_co_u32_e32 v9, vcc, v9, v11
	v_addc_co_u32_e32 v11, vcc, 0, v13, vcc
	v_mul_lo_u32 v8, v7, v8
	v_add_co_u32_e32 v9, vcc, v9, v10
	v_addc_co_u32_e32 v9, vcc, v11, v12, vcc
	v_addc_co_u32_e32 v10, vcc, 0, v16, vcc
	v_add_co_u32_e32 v8, vcc, v9, v8
	v_addc_co_u32_e32 v9, vcc, 0, v10, vcc
	v_add_co_u32_e32 v4, vcc, v4, v8
	v_addc_co_u32_e32 v7, vcc, v7, v9, vcc
	v_mul_lo_u32 v8, s0, v7
	v_mul_hi_u32 v9, s0, v4
	v_mul_lo_u32 v10, s1, v4
	v_mul_lo_u32 v11, s0, v4
	v_add_u32_e32 v8, v9, v8
	v_add_u32_e32 v8, v8, v10
	v_mul_lo_u32 v12, v4, v8
	v_mul_hi_u32 v13, v4, v11
	v_mul_hi_u32 v16, v4, v8
	v_mul_hi_u32 v10, v7, v11
	v_mul_lo_u32 v11, v7, v11
	v_mul_hi_u32 v9, v7, v8
	v_add_co_u32_e32 v12, vcc, v13, v12
	v_addc_co_u32_e32 v13, vcc, 0, v16, vcc
	v_mul_lo_u32 v8, v7, v8
	v_add_co_u32_e32 v11, vcc, v12, v11
	v_addc_co_u32_e32 v10, vcc, v13, v10, vcc
	v_addc_co_u32_e32 v9, vcc, 0, v9, vcc
	v_add_co_u32_e32 v8, vcc, v10, v8
	v_addc_co_u32_e32 v9, vcc, 0, v9, vcc
	v_add_co_u32_e32 v4, vcc, v4, v8
	v_addc_co_u32_e32 v9, vcc, v7, v9, vcc
	v_mad_u64_u32 v[7:8], s[0:1], v5, v9, 0
	v_mul_hi_u32 v10, v5, v4
	v_add_co_u32_e32 v11, vcc, v10, v7
	v_addc_co_u32_e32 v12, vcc, 0, v8, vcc
	v_mad_u64_u32 v[7:8], s[0:1], v6, v4, 0
	v_mad_u64_u32 v[9:10], s[0:1], v6, v9, 0
	v_add_co_u32_e32 v4, vcc, v11, v7
	v_addc_co_u32_e32 v4, vcc, v12, v8, vcc
	v_addc_co_u32_e32 v7, vcc, 0, v10, vcc
	v_add_co_u32_e32 v4, vcc, v4, v9
	v_addc_co_u32_e32 v9, vcc, 0, v7, vcc
	v_mul_lo_u32 v10, s25, v4
	v_mul_lo_u32 v11, s24, v9
	v_mad_u64_u32 v[7:8], s[0:1], s24, v4, 0
	v_add3_u32 v8, v8, v11, v10
	v_sub_u32_e32 v10, v6, v8
	v_mov_b32_e32 v11, s25
	v_sub_co_u32_e32 v7, vcc, v5, v7
	v_subb_co_u32_e64 v10, s[0:1], v10, v11, vcc
	v_subrev_co_u32_e64 v11, s[0:1], s24, v7
	v_subbrev_co_u32_e64 v10, s[0:1], 0, v10, s[0:1]
	v_cmp_le_u32_e64 s[0:1], s25, v10
	v_cndmask_b32_e64 v12, 0, -1, s[0:1]
	v_cmp_le_u32_e64 s[0:1], s24, v11
	v_cndmask_b32_e64 v11, 0, -1, s[0:1]
	v_cmp_eq_u32_e64 s[0:1], s25, v10
	v_cndmask_b32_e64 v10, v12, v11, s[0:1]
	v_add_co_u32_e64 v11, s[0:1], 2, v4
	v_addc_co_u32_e64 v12, s[0:1], 0, v9, s[0:1]
	v_add_co_u32_e64 v13, s[0:1], 1, v4
	v_addc_co_u32_e64 v16, s[0:1], 0, v9, s[0:1]
	v_subb_co_u32_e32 v8, vcc, v6, v8, vcc
	v_cmp_ne_u32_e64 s[0:1], 0, v10
	v_cmp_le_u32_e32 vcc, s25, v8
	v_cndmask_b32_e64 v10, v16, v12, s[0:1]
	v_cndmask_b32_e64 v12, 0, -1, vcc
	v_cmp_le_u32_e32 vcc, s24, v7
	v_cndmask_b32_e64 v7, 0, -1, vcc
	v_cmp_eq_u32_e32 vcc, s25, v8
	v_cndmask_b32_e32 v7, v12, v7, vcc
	v_cmp_ne_u32_e32 vcc, 0, v7
	v_cndmask_b32_e64 v7, v13, v11, s[0:1]
	v_cndmask_b32_e32 v17, v9, v10, vcc
	v_cndmask_b32_e32 v16, v4, v7, vcc
.LBB0_4:                                ;   in Loop: Header=BB0_2 Depth=1
	s_andn2_saveexec_b64 s[0:1], s[26:27]
	s_cbranch_execz .LBB0_6
; %bb.5:                                ;   in Loop: Header=BB0_2 Depth=1
	v_cvt_f32_u32_e32 v4, s24
	s_sub_i32 s26, 0, s24
	v_mov_b32_e32 v17, v3
	v_rcp_iflag_f32_e32 v4, v4
	v_mul_f32_e32 v4, 0x4f7ffffe, v4
	v_cvt_u32_f32_e32 v4, v4
	v_mul_lo_u32 v7, s26, v4
	v_mul_hi_u32 v7, v4, v7
	v_add_u32_e32 v4, v4, v7
	v_mul_hi_u32 v4, v5, v4
	v_mul_lo_u32 v7, v4, s24
	v_add_u32_e32 v8, 1, v4
	v_sub_u32_e32 v7, v5, v7
	v_subrev_u32_e32 v9, s24, v7
	v_cmp_le_u32_e32 vcc, s24, v7
	v_cndmask_b32_e32 v7, v7, v9, vcc
	v_cndmask_b32_e32 v4, v4, v8, vcc
	v_add_u32_e32 v8, 1, v4
	v_cmp_le_u32_e32 vcc, s24, v7
	v_cndmask_b32_e32 v16, v4, v8, vcc
.LBB0_6:                                ;   in Loop: Header=BB0_2 Depth=1
	s_or_b64 exec, exec, s[0:1]
	v_mul_lo_u32 v4, v17, s24
	v_mul_lo_u32 v9, v16, s25
	v_mad_u64_u32 v[7:8], s[0:1], v16, s24, 0
	s_load_dwordx2 s[0:1], s[6:7], 0x0
	s_load_dwordx2 s[24:25], s[2:3], 0x0
	v_add3_u32 v4, v8, v9, v4
	v_sub_co_u32_e32 v5, vcc, v5, v7
	v_subb_co_u32_e32 v4, vcc, v6, v4, vcc
	s_waitcnt lgkmcnt(0)
	v_mul_lo_u32 v6, s0, v4
	v_mul_lo_u32 v7, s1, v5
	v_mad_u64_u32 v[1:2], s[0:1], s0, v5, v[1:2]
	v_mul_lo_u32 v4, s24, v4
	v_mul_lo_u32 v8, s25, v5
	v_mad_u64_u32 v[14:15], s[0:1], s24, v5, v[14:15]
	s_add_u32 s22, s22, 1
	s_addc_u32 s23, s23, 0
	s_add_u32 s2, s2, 8
	v_add3_u32 v15, v8, v15, v4
	s_addc_u32 s3, s3, 0
	v_mov_b32_e32 v4, s14
	s_add_u32 s6, s6, 8
	v_mov_b32_e32 v5, s15
	s_addc_u32 s7, s7, 0
	v_cmp_ge_u64_e32 vcc, s[22:23], v[4:5]
	s_add_u32 s20, s20, 8
	v_add3_u32 v2, v7, v2, v6
	s_addc_u32 s21, s21, 0
	s_cbranch_vccnz .LBB0_9
; %bb.7:                                ;   in Loop: Header=BB0_2 Depth=1
	v_mov_b32_e32 v5, v16
	v_mov_b32_e32 v6, v17
	s_branch .LBB0_2
.LBB0_8:
	v_mov_b32_e32 v15, v2
	v_mov_b32_e32 v17, v6
	;; [unrolled: 1-line block ×4, first 2 shown]
.LBB0_9:
	s_load_dwordx2 s[0:1], s[4:5], 0x28
	s_lshl_b64 s[6:7], s[14:15], 3
	s_add_u32 s2, s18, s6
	s_addc_u32 s3, s19, s7
                                        ; implicit-def: $vgpr18
                                        ; implicit-def: $vgpr20
                                        ; implicit-def: $vgpr22
	s_waitcnt lgkmcnt(0)
	v_cmp_gt_u64_e32 vcc, s[0:1], v[16:17]
	v_cmp_le_u64_e64 s[0:1], s[0:1], v[16:17]
	s_and_saveexec_b64 s[4:5], s[0:1]
	s_xor_b64 s[0:1], exec, s[4:5]
; %bb.10:
	s_mov_b32 s4, 0x5d1745e
	v_mul_hi_u32 v1, v0, s4
	v_mul_u32_u24_e32 v1, 44, v1
	v_sub_u32_e32 v18, v0, v1
	v_add_u32_e32 v20, 44, v18
	v_add_u32_e32 v22, 0x58, v18
                                        ; implicit-def: $vgpr0
                                        ; implicit-def: $vgpr1_vgpr2
; %bb.11:
	s_andn2_saveexec_b64 s[4:5], s[0:1]
	s_cbranch_execz .LBB0_13
; %bb.12:
	s_add_u32 s0, s16, s6
	s_addc_u32 s1, s17, s7
	s_load_dwordx2 s[0:1], s[0:1], 0x0
	s_mov_b32 s6, 0x5d1745e
	v_mul_hi_u32 v5, v0, s6
	s_waitcnt lgkmcnt(0)
	v_mul_lo_u32 v6, s1, v16
	v_mul_lo_u32 v7, s0, v17
	v_mad_u64_u32 v[3:4], s[0:1], s0, v16, 0
	v_mul_u32_u24_e32 v5, 44, v5
	v_sub_u32_e32 v18, v0, v5
	v_add3_u32 v4, v4, v7, v6
	v_lshlrev_b64 v[3:4], 3, v[3:4]
	v_mov_b32_e32 v0, s9
	v_add_co_u32_e64 v3, s[0:1], s8, v3
	v_addc_co_u32_e64 v4, s[0:1], v0, v4, s[0:1]
	v_lshlrev_b64 v[0:1], 3, v[1:2]
	v_lshlrev_b32_e32 v19, 3, v18
	v_add_co_u32_e64 v0, s[0:1], v3, v0
	v_addc_co_u32_e64 v1, s[0:1], v4, v1, s[0:1]
	v_add_co_u32_e64 v0, s[0:1], v0, v19
	v_addc_co_u32_e64 v1, s[0:1], 0, v1, s[0:1]
	global_load_dwordx2 v[2:3], v[0:1], off
	global_load_dwordx2 v[4:5], v[0:1], off offset:352
	global_load_dwordx2 v[6:7], v[0:1], off offset:704
	;; [unrolled: 1-line block ×10, first 2 shown]
	v_add_u32_e32 v20, 44, v18
	v_add_u32_e32 v22, 0x58, v18
	v_add_u32_e32 v0, 0, v19
	v_add_u32_e32 v1, 0x800, v0
	s_waitcnt vmcnt(9)
	ds_write2_b64 v0, v[2:3], v[4:5] offset1:44
	s_waitcnt vmcnt(7)
	ds_write2_b64 v0, v[6:7], v[8:9] offset0:88 offset1:132
	s_waitcnt vmcnt(5)
	ds_write2_b64 v0, v[10:11], v[12:13] offset0:176 offset1:220
	;; [unrolled: 2-line block ×4, first 2 shown]
	s_waitcnt vmcnt(0)
	ds_write_b64 v0, v[31:32] offset:3520
.LBB0_13:
	s_or_b64 exec, exec, s[4:5]
	v_lshl_add_u32 v24, v18, 3, 0
	v_add_u32_e32 v0, 0x400, v24
	s_load_dwordx2 s[2:3], s[2:3], 0x0
	s_waitcnt lgkmcnt(0)
	; wave barrier
	s_waitcnt lgkmcnt(0)
	ds_read2_b64 v[25:28], v24 offset1:44
	ds_read2_b64 v[29:32], v0 offset0:114 offset1:158
	v_add_u32_e32 v19, 0x800, v24
	ds_read2_b64 v[0:3], v24 offset0:88 offset1:121
	ds_read2_b64 v[4:7], v19 offset0:74 offset1:107
	v_mad_u32_u24 v21, v18, 24, v24
	v_cmp_gt_u32_e64 s[0:1], 33, v18
	s_waitcnt lgkmcnt(2)
	v_sub_f32_e32 v8, v25, v29
	v_sub_f32_e32 v9, v26, v30
	s_waitcnt lgkmcnt(0)
	v_sub_f32_e32 v6, v2, v6
	v_sub_f32_e32 v7, v3, v7
	v_fma_f32 v10, v25, 2.0, -v8
	v_fma_f32 v11, v26, 2.0, -v9
	;; [unrolled: 1-line block ×4, first 2 shown]
	v_sub_f32_e32 v2, v10, v2
	v_sub_f32_e32 v3, v11, v3
	;; [unrolled: 1-line block ×3, first 2 shown]
	v_add_f32_e32 v30, v9, v6
	v_fma_f32 v25, v10, 2.0, -v2
	v_fma_f32 v26, v11, 2.0, -v3
	;; [unrolled: 1-line block ×4, first 2 shown]
	ds_read2_b64 v[6:9], v24 offset0:165 offset1:209
	ds_read2_b64 v[10:13], v19 offset0:151 offset1:195
	s_waitcnt lgkmcnt(0)
	; wave barrier
	s_waitcnt lgkmcnt(0)
	ds_write2_b64 v21, v[25:26], v[33:34] offset1:1
	ds_write2_b64 v21, v[2:3], v[29:30] offset0:2 offset1:3
	v_sub_f32_e32 v21, v27, v31
	v_sub_f32_e32 v23, v28, v32
	v_fma_f32 v25, v27, 2.0, -v21
	v_fma_f32 v26, v28, 2.0, -v23
	v_sub_f32_e32 v27, v6, v10
	v_sub_f32_e32 v28, v7, v11
	v_fma_f32 v2, v6, 2.0, -v27
	v_fma_f32 v3, v7, 2.0, -v28
	;; [unrolled: 4-line block ×3, first 2 shown]
	v_sub_f32_e32 v25, v21, v28
	v_add_f32_e32 v26, v23, v27
	v_fma_f32 v27, v21, 2.0, -v25
	v_fma_f32 v28, v23, 2.0, -v26
	v_lshl_add_u32 v6, v20, 5, 0
	ds_write2_b64 v6, v[10:11], v[27:28] offset1:1
	ds_write2_b64 v6, v[2:3], v[25:26] offset0:2 offset1:3
	s_and_saveexec_b64 s[4:5], s[0:1]
	s_cbranch_execz .LBB0_15
; %bb.14:
	v_sub_f32_e32 v7, v1, v5
	v_sub_f32_e32 v10, v8, v12
	v_add_f32_e32 v3, v7, v10
	v_sub_f32_e32 v12, v9, v13
	v_fma_f32 v5, v7, 2.0, -v3
	v_fma_f32 v7, v1, 2.0, -v7
	v_fma_f32 v1, v9, 2.0, -v12
	v_sub_f32_e32 v11, v0, v4
	v_sub_f32_e32 v1, v7, v1
	v_fma_f32 v9, v7, 2.0, -v1
	v_fma_f32 v7, v0, 2.0, -v11
	;; [unrolled: 1-line block ×3, first 2 shown]
	v_sub_f32_e32 v2, v11, v12
	v_sub_f32_e32 v0, v7, v0
	v_fma_f32 v4, v11, 2.0, -v2
	v_fma_f32 v8, v7, 2.0, -v0
	v_lshl_add_u32 v7, v22, 5, 0
	ds_write2_b64 v7, v[8:9], v[4:5] offset1:1
	ds_write2_b64 v7, v[0:1], v[2:3] offset0:2 offset1:3
.LBB0_15:
	s_or_b64 exec, exec, s[4:5]
	v_and_b32_e32 v1, 3, v18
	v_mul_u32_u24_e32 v0, 10, v1
	v_lshlrev_b32_e32 v0, 3, v0
	s_waitcnt lgkmcnt(0)
	; wave barrier
	s_waitcnt lgkmcnt(0)
	global_load_dwordx4 v[2:5], v0, s[12:13]
	global_load_dwordx4 v[8:11], v0, s[12:13] offset:64
	global_load_dwordx4 v[25:28], v0, s[12:13] offset:48
	;; [unrolled: 1-line block ×4, first 2 shown]
	s_movk_i32 s4, 0xffe8
	v_mad_i32_i24 v0, v20, s4, v6
	v_lshl_add_u32 v7, v22, 3, 0
	ds_read_b64 v[12:13], v24 offset:3520
	ds_read2_b64 v[37:40], v19 offset0:96 offset1:140
	ds_read2_b64 v[41:44], v19 offset0:8 offset1:52
	;; [unrolled: 1-line block ×3, first 2 shown]
	ds_read2_b64 v[49:52], v24 offset1:132
	ds_read_b64 v[53:54], v0
	ds_read_b64 v[55:56], v7
	s_mov_b32 s0, 0x3f575c64
	s_mov_b32 s1, 0x3ed4b147
	;; [unrolled: 1-line block ×5, first 2 shown]
	s_waitcnt lgkmcnt(0)
	; wave barrier
	s_waitcnt vmcnt(4) lgkmcnt(0)
	v_mul_f32_e32 v21, v3, v54
	v_mul_f32_e32 v3, v3, v53
	;; [unrolled: 1-line block ×4, first 2 shown]
	s_waitcnt vmcnt(3)
	v_mul_f32_e32 v57, v13, v11
	v_mul_f32_e32 v11, v12, v11
	v_fma_f32 v21, v2, v53, -v21
	v_fmac_f32_e32 v3, v2, v54
	v_mul_f32_e32 v2, v40, v9
	v_mul_f32_e32 v9, v39, v9
	v_fma_f32 v23, v4, v55, -v23
	v_fmac_f32_e32 v5, v4, v56
	s_waitcnt vmcnt(2)
	v_mul_f32_e32 v4, v38, v28
	v_mul_f32_e32 v28, v37, v28
	;; [unrolled: 1-line block ×4, first 2 shown]
	s_waitcnt vmcnt(1)
	v_mul_f32_e32 v54, v42, v32
	v_mul_f32_e32 v32, v41, v32
	v_fma_f32 v12, v12, v10, -v57
	v_fmac_f32_e32 v11, v13, v10
	v_mul_f32_e32 v10, v30, v48
	v_mul_f32_e32 v13, v30, v47
	v_fma_f32 v30, v39, v8, -v2
	v_fmac_f32_e32 v9, v40, v8
	s_waitcnt vmcnt(0)
	v_mul_f32_e32 v2, v36, v46
	v_mul_f32_e32 v8, v36, v45
	;; [unrolled: 1-line block ×4, first 2 shown]
	v_fma_f32 v4, v37, v27, -v4
	v_fmac_f32_e32 v28, v38, v27
	v_fma_f32 v27, v43, v25, -v53
	v_fmac_f32_e32 v26, v44, v25
	;; [unrolled: 2-line block ×4, first 2 shown]
	v_fma_f32 v29, v35, v45, -v2
	v_fma_f32 v31, v33, v51, -v36
	v_sub_f32_e32 v2, v3, v11
	v_sub_f32_e32 v36, v21, v12
	v_fmac_f32_e32 v34, v33, v52
	v_add_f32_e32 v33, v21, v12
	v_mul_f32_e32 v37, 0xbf0a6770, v2
	v_mul_f32_e32 v38, 0xbf68dda4, v2
	;; [unrolled: 1-line block ×10, first 2 shown]
	v_fmac_f32_e32 v8, v35, v46
	v_add_f32_e32 v35, v3, v11
	v_fma_f32 v43, v33, s0, -v37
	v_fmac_f32_e32 v37, 0x3f575c64, v33
	v_fma_f32 v44, v33, s1, -v38
	v_fmac_f32_e32 v38, 0x3ed4b147, v33
	;; [unrolled: 2-line block ×5, first 2 shown]
	v_mov_b32_e32 v33, v41
	v_mov_b32_e32 v48, v42
	v_mov_b32_e32 v52, v51
	v_mov_b32_e32 v54, v53
	v_mov_b32_e32 v55, v36
	v_add_f32_e32 v21, v21, v49
	v_add_f32_e32 v3, v3, v50
	v_fma_f32 v41, v35, s0, -v41
	v_fmac_f32_e32 v33, 0x3f575c64, v35
	v_fmac_f32_e32 v48, 0x3ed4b147, v35
	v_fma_f32 v42, v35, s1, -v42
	v_fmac_f32_e32 v52, 0xbe11bafb, v35
	v_fma_f32 v51, v35, s4, -v51
	;; [unrolled: 2-line block ×4, first 2 shown]
	v_add_f32_e32 v36, v43, v49
	v_add_f32_e32 v37, v37, v49
	;; [unrolled: 1-line block ×27, first 2 shown]
	v_sub_f32_e32 v23, v23, v30
	v_sub_f32_e32 v30, v5, v9
	v_add_f32_e32 v33, v33, v50
	v_add_f32_e32 v41, v41, v50
	;; [unrolled: 1-line block ×12, first 2 shown]
	v_mul_f32_e32 v9, 0xbf68dda4, v30
	v_mul_f32_e32 v11, 0xbf68dda4, v23
	v_add_f32_e32 v2, v2, v12
	v_fma_f32 v5, v21, s1, -v9
	v_mov_b32_e32 v12, v11
	v_add_f32_e32 v5, v5, v36
	v_fmac_f32_e32 v12, 0x3ed4b147, v50
	v_add_f32_e32 v36, v34, v28
	v_sub_f32_e32 v34, v34, v28
	v_add_f32_e32 v12, v12, v33
	v_add_f32_e32 v33, v31, v4
	v_sub_f32_e32 v31, v31, v4
	v_mul_f32_e32 v28, 0xbf7d64f0, v34
	v_fma_f32 v4, v33, s4, -v28
	v_mul_f32_e32 v55, 0xbf7d64f0, v31
	v_add_f32_e32 v4, v4, v5
	v_mov_b32_e32 v5, v55
	v_sub_f32_e32 v58, v8, v26
	v_fmac_f32_e32 v5, 0xbe11bafb, v36
	v_add_f32_e32 v56, v29, v27
	v_add_f32_e32 v57, v8, v26
	v_mul_f32_e32 v8, 0xbf4178ce, v58
	v_add_f32_e32 v61, v13, v32
	v_sub_f32_e32 v32, v13, v32
	v_add_f32_e32 v5, v5, v12
	v_sub_f32_e32 v29, v29, v27
	v_fma_f32 v12, v56, s5, -v8
	v_add_f32_e32 v59, v10, v25
	v_sub_f32_e32 v60, v10, v25
	v_mul_f32_e32 v10, 0xbe903f40, v32
	v_add_f32_e32 v4, v12, v4
	v_mul_f32_e32 v12, 0xbf4178ce, v29
	v_fma_f32 v13, v59, s6, -v10
	v_mov_b32_e32 v26, v12
	v_add_f32_e32 v4, v13, v4
	v_mul_f32_e32 v13, 0xbe903f40, v60
	v_fmac_f32_e32 v26, 0xbf27a4f4, v57
	v_mov_b32_e32 v25, v13
	v_add_f32_e32 v5, v26, v5
	v_fmac_f32_e32 v25, 0xbf75a155, v61
	v_add_f32_e32 v5, v25, v5
	v_lshrrev_b32_e32 v25, 2, v18
	v_mul_u32_u24_e32 v25, 44, v25
	v_or_b32_e32 v1, v25, v1
	v_lshl_add_u32 v62, v1, 3, 0
	ds_write2_b64 v62, v[2:3], v[4:5] offset1:4
	v_fma_f32 v2, v50, s1, -v11
	v_fmac_f32_e32 v9, 0x3ed4b147, v21
	v_add_f32_e32 v2, v2, v41
	v_fma_f32 v3, v36, s4, -v55
	v_add_f32_e32 v1, v9, v37
	v_fmac_f32_e32 v28, 0xbe11bafb, v33
	v_add_f32_e32 v2, v3, v2
	v_fma_f32 v3, v57, s5, -v12
	v_add_f32_e32 v1, v28, v1
	v_fmac_f32_e32 v8, 0xbf27a4f4, v56
	v_add_f32_e32 v2, v3, v2
	v_fma_f32 v3, v61, s6, -v13
	v_mul_f32_e32 v5, 0xbf4178ce, v30
	v_add_f32_e32 v1, v8, v1
	v_fmac_f32_e32 v10, 0xbf75a155, v59
	v_add_f32_e32 v2, v3, v2
	v_fma_f32 v3, v21, s5, -v5
	v_mul_f32_e32 v9, 0x3e903f40, v34
	v_add_f32_e32 v1, v10, v1
	v_add_f32_e32 v3, v3, v43
	v_mul_f32_e32 v8, 0xbf4178ce, v23
	v_fma_f32 v10, v33, s6, -v9
	v_mov_b32_e32 v4, v8
	v_add_f32_e32 v3, v10, v3
	v_mul_f32_e32 v10, 0x3e903f40, v31
	v_fmac_f32_e32 v4, 0xbf27a4f4, v50
	v_mov_b32_e32 v11, v10
	v_add_f32_e32 v4, v4, v44
	v_fmac_f32_e32 v11, 0xbf75a155, v36
	v_add_f32_e32 v4, v11, v4
	v_mul_f32_e32 v11, 0x3f7d64f0, v58
	v_fma_f32 v12, v56, s4, -v11
	v_add_f32_e32 v3, v12, v3
	v_mul_f32_e32 v12, 0x3f7d64f0, v29
	v_mov_b32_e32 v13, v12
	v_fmac_f32_e32 v13, 0xbe11bafb, v57
	v_fmac_f32_e32 v5, 0xbf27a4f4, v21
	v_add_f32_e32 v4, v13, v4
	v_mul_f32_e32 v13, 0x3f0a6770, v32
	v_add_f32_e32 v5, v5, v38
	v_fma_f32 v8, v50, s5, -v8
	v_fmac_f32_e32 v9, 0xbf75a155, v33
	v_fma_f32 v25, v59, s0, -v13
	v_add_f32_e32 v8, v8, v42
	v_add_f32_e32 v5, v9, v5
	v_fma_f32 v9, v36, s6, -v10
	v_fmac_f32_e32 v11, 0xbe11bafb, v56
	v_add_f32_e32 v3, v25, v3
	v_mul_f32_e32 v25, 0x3f0a6770, v60
	v_add_f32_e32 v8, v9, v8
	v_add_f32_e32 v5, v11, v5
	v_fma_f32 v9, v57, s4, -v12
	v_fmac_f32_e32 v13, 0x3f575c64, v59
	v_add_f32_e32 v9, v9, v8
	v_add_f32_e32 v8, v13, v5
	v_fma_f32 v5, v61, s0, -v25
	v_add_f32_e32 v9, v5, v9
	v_mul_f32_e32 v5, 0x3e903f40, v30
	v_fma_f32 v10, v21, s6, -v5
	v_mul_f32_e32 v13, 0x3f68dda4, v34
	v_mov_b32_e32 v26, v25
	v_add_f32_e32 v10, v10, v45
	v_mul_f32_e32 v12, 0x3e903f40, v23
	v_fma_f32 v25, v33, s1, -v13
	v_fmac_f32_e32 v26, 0x3f575c64, v61
	v_mov_b32_e32 v11, v12
	v_add_f32_e32 v10, v25, v10
	v_mul_f32_e32 v25, 0x3f68dda4, v31
	v_add_f32_e32 v4, v26, v4
	v_fmac_f32_e32 v11, 0xbf75a155, v50
	v_mov_b32_e32 v26, v25
	v_add_f32_e32 v11, v11, v48
	v_fmac_f32_e32 v26, 0x3ed4b147, v36
	v_add_f32_e32 v11, v26, v11
	v_mul_f32_e32 v26, 0xbf0a6770, v58
	v_fma_f32 v27, v56, s0, -v26
	v_add_f32_e32 v10, v27, v10
	v_mul_f32_e32 v27, 0xbf0a6770, v29
	v_mov_b32_e32 v28, v27
	v_fmac_f32_e32 v28, 0x3f575c64, v57
	v_fmac_f32_e32 v5, 0xbf75a155, v21
	v_add_f32_e32 v11, v28, v11
	v_mul_f32_e32 v28, 0xbf4178ce, v32
	v_add_f32_e32 v5, v5, v39
	v_fma_f32 v12, v50, s6, -v12
	v_fmac_f32_e32 v13, 0x3ed4b147, v33
	v_fma_f32 v37, v59, s5, -v28
	v_add_f32_e32 v12, v12, v51
	v_add_f32_e32 v5, v13, v5
	v_fma_f32 v13, v36, s1, -v25
	v_fmac_f32_e32 v26, 0x3f575c64, v56
	v_add_f32_e32 v10, v37, v10
	v_mul_f32_e32 v37, 0xbf4178ce, v60
	v_add_f32_e32 v12, v13, v12
	v_add_f32_e32 v5, v26, v5
	v_fma_f32 v13, v57, s0, -v27
	v_fmac_f32_e32 v28, 0xbf27a4f4, v59
	v_add_f32_e32 v13, v13, v12
	v_add_f32_e32 v12, v28, v5
	v_fma_f32 v5, v61, s5, -v37
	v_add_f32_e32 v13, v5, v13
	v_mul_f32_e32 v5, 0x3f7d64f0, v30
	v_fma_f32 v25, v21, s4, -v5
	v_mul_f32_e32 v28, 0xbf0a6770, v34
	v_mov_b32_e32 v38, v37
	v_add_f32_e32 v25, v25, v46
	v_mul_f32_e32 v27, 0x3f7d64f0, v23
	v_fma_f32 v37, v33, s0, -v28
	v_fmac_f32_e32 v38, 0xbf27a4f4, v61
	v_mov_b32_e32 v26, v27
	v_add_f32_e32 v25, v37, v25
	v_mul_f32_e32 v37, 0xbf0a6770, v31
	v_add_f32_e32 v11, v38, v11
	v_fmac_f32_e32 v26, 0xbe11bafb, v50
	v_mov_b32_e32 v38, v37
	v_add_f32_e32 v26, v26, v52
	v_fmac_f32_e32 v38, 0x3f575c64, v36
	v_add_f32_e32 v26, v38, v26
	v_mul_f32_e32 v38, 0xbe903f40, v58
	v_fma_f32 v39, v56, s6, -v38
	v_add_f32_e32 v25, v39, v25
	v_mul_f32_e32 v39, 0xbe903f40, v29
	v_mov_b32_e32 v41, v39
	v_fmac_f32_e32 v41, 0xbf75a155, v57
	v_fmac_f32_e32 v5, 0xbe11bafb, v21
	v_add_f32_e32 v26, v41, v26
	v_mul_f32_e32 v41, 0x3f68dda4, v32
	v_add_f32_e32 v5, v5, v40
	v_fma_f32 v27, v50, s4, -v27
	v_fmac_f32_e32 v28, 0x3f575c64, v33
	v_fma_f32 v42, v59, s1, -v41
	v_add_f32_e32 v27, v27, v53
	v_add_f32_e32 v5, v28, v5
	v_fma_f32 v28, v36, s0, -v37
	v_fmac_f32_e32 v38, 0xbf75a155, v56
	v_add_f32_e32 v25, v42, v25
	v_mul_f32_e32 v42, 0x3f68dda4, v60
	v_add_f32_e32 v27, v28, v27
	v_add_f32_e32 v5, v38, v5
	v_fma_f32 v28, v57, s6, -v39
	v_fmac_f32_e32 v41, 0x3ed4b147, v59
	v_add_f32_e32 v28, v28, v27
	v_add_f32_e32 v27, v41, v5
	v_fma_f32 v5, v61, s1, -v42
	v_add_f32_e32 v28, v5, v28
	v_mul_f32_e32 v5, 0x3f0a6770, v30
	v_fma_f32 v30, v21, s0, -v5
	v_mul_f32_e32 v23, 0x3f0a6770, v23
	v_mul_f32_e32 v34, 0xbf4178ce, v34
	v_add_f32_e32 v30, v30, v47
	v_mov_b32_e32 v37, v23
	v_fma_f32 v38, v33, s5, -v34
	v_mul_f32_e32 v31, 0xbf4178ce, v31
	v_fmac_f32_e32 v37, 0x3f575c64, v50
	v_add_f32_e32 v30, v38, v30
	v_mov_b32_e32 v38, v31
	v_add_f32_e32 v37, v37, v54
	v_fmac_f32_e32 v38, 0xbf27a4f4, v36
	v_add_f32_e32 v37, v38, v37
	v_mul_f32_e32 v38, 0x3f68dda4, v58
	v_fma_f32 v39, v56, s1, -v38
	v_add_f32_e32 v30, v39, v30
	v_mul_f32_e32 v39, 0x3f68dda4, v29
	v_mov_b32_e32 v29, v39
	v_fmac_f32_e32 v29, 0x3ed4b147, v57
	v_mul_f32_e32 v32, 0xbf7d64f0, v32
	v_fmac_f32_e32 v5, 0x3f575c64, v21
	v_fma_f32 v21, v50, s0, -v23
	v_add_f32_e32 v37, v29, v37
	v_fma_f32 v29, v59, s4, -v32
	v_mul_f32_e32 v40, 0xbf7d64f0, v60
	v_add_f32_e32 v5, v5, v49
	v_add_f32_e32 v21, v21, v35
	v_fmac_f32_e32 v34, 0xbf27a4f4, v33
	v_fma_f32 v23, v36, s5, -v31
	v_mov_b32_e32 v43, v42
	v_add_f32_e32 v29, v29, v30
	v_mov_b32_e32 v30, v40
	v_add_f32_e32 v5, v34, v5
	v_add_f32_e32 v21, v23, v21
	v_fmac_f32_e32 v38, 0x3ed4b147, v56
	v_fma_f32 v23, v57, s1, -v39
	v_fmac_f32_e32 v43, 0x3ed4b147, v61
	v_fmac_f32_e32 v30, 0xbe11bafb, v61
	v_add_f32_e32 v5, v38, v5
	v_add_f32_e32 v21, v23, v21
	v_fmac_f32_e32 v32, 0xbe11bafb, v59
	v_fma_f32 v23, v61, s4, -v40
	v_add_f32_e32 v26, v43, v26
	v_add_f32_e32 v30, v30, v37
	;; [unrolled: 1-line block ×4, first 2 shown]
	ds_write2_b64 v62, v[3:4], v[10:11] offset0:8 offset1:12
	ds_write2_b64 v62, v[25:26], v[29:30] offset0:16 offset1:20
	;; [unrolled: 1-line block ×4, first 2 shown]
	ds_write_b64 v62, v[1:2] offset:320
	v_mul_u32_u24_e32 v1, 10, v18
	v_lshlrev_b32_e32 v5, 3, v1
	s_waitcnt lgkmcnt(0)
	; wave barrier
	s_waitcnt lgkmcnt(0)
	global_load_dwordx4 v[1:4], v5, s[12:13] offset:320
	global_load_dwordx4 v[8:11], v5, s[12:13] offset:384
	;; [unrolled: 1-line block ×5, first 2 shown]
	ds_read_b64 v[12:13], v0
	ds_read2_b64 v[37:40], v19 offset0:96 offset1:140
	ds_read_b64 v[41:42], v7
	s_waitcnt vmcnt(4) lgkmcnt(2)
	v_mul_f32_e32 v0, v2, v13
	v_fma_f32 v21, v1, v12, -v0
	v_mul_f32_e32 v12, v2, v12
	v_fmac_f32_e32 v12, v1, v13
	ds_read_b64 v[0:1], v24 offset:3520
	s_waitcnt lgkmcnt(1)
	v_mul_f32_e32 v2, v4, v42
	v_fma_f32 v13, v3, v41, -v2
	s_waitcnt vmcnt(3)
	v_mul_f32_e32 v2, v40, v9
	v_mul_f32_e32 v23, v4, v41
	v_fma_f32 v41, v39, v8, -v2
	s_waitcnt lgkmcnt(0)
	v_mul_f32_e32 v2, v1, v11
	v_mul_f32_e32 v43, v0, v11
	v_fmac_f32_e32 v23, v3, v42
	v_fma_f32 v42, v0, v10, -v2
	v_fmac_f32_e32 v43, v1, v10
	ds_read2_b64 v[0:3], v19 offset0:8 offset1:52
	v_mul_f32_e32 v39, v39, v9
	s_waitcnt vmcnt(2)
	v_mul_f32_e32 v4, v38, v28
	v_fmac_f32_e32 v39, v40, v8
	v_fma_f32 v40, v37, v27, -v4
	v_mul_f32_e32 v28, v37, v28
	s_waitcnt lgkmcnt(0)
	v_mul_f32_e32 v4, v3, v26
	v_mul_f32_e32 v26, v2, v26
	v_fmac_f32_e32 v28, v38, v27
	v_fma_f32 v27, v2, v25, -v4
	v_fmac_f32_e32 v26, v3, v25
	ds_read2_b64 v[2:5], v24 offset0:176 offset1:220
	s_waitcnt vmcnt(1)
	v_mul_f32_e32 v8, v1, v32
	v_fma_f32 v25, v0, v31, -v8
	ds_read2_b64 v[8:11], v24 offset1:132
	v_mul_f32_e32 v32, v0, v32
	s_waitcnt lgkmcnt(1)
	v_mul_f32_e32 v0, v30, v5
	v_fmac_f32_e32 v32, v1, v31
	v_fma_f32 v31, v29, v4, -v0
	v_mul_f32_e32 v4, v30, v4
	s_waitcnt vmcnt(0)
	v_mul_f32_e32 v0, v36, v3
	v_fmac_f32_e32 v4, v29, v5
	v_fma_f32 v5, v35, v2, -v0
	v_mul_f32_e32 v2, v36, v2
	s_waitcnt lgkmcnt(0)
	v_mul_f32_e32 v0, v34, v11
	v_fmac_f32_e32 v2, v35, v3
	v_fma_f32 v3, v33, v10, -v0
	v_mul_f32_e32 v10, v34, v10
	v_sub_f32_e32 v1, v12, v43
	v_sub_f32_e32 v44, v21, v42
	v_fmac_f32_e32 v10, v33, v11
	v_add_f32_e32 v0, v21, v42
	v_mul_f32_e32 v11, 0xbf0a6770, v1
	v_mul_f32_e32 v30, 0xbf68dda4, v1
	;; [unrolled: 1-line block ×10, first 2 shown]
	v_fma_f32 v29, v0, s0, -v11
	v_fmac_f32_e32 v11, 0x3f575c64, v0
	v_fma_f32 v33, v0, s1, -v30
	v_fmac_f32_e32 v30, 0x3ed4b147, v0
	;; [unrolled: 2-line block ×5, first 2 shown]
	v_add_f32_e32 v0, v12, v43
	v_mov_b32_e32 v46, v45
	v_mov_b32_e32 v48, v47
	;; [unrolled: 1-line block ×5, first 2 shown]
	v_fmac_f32_e32 v46, 0x3f575c64, v0
	v_fma_f32 v45, v0, s0, -v45
	v_fmac_f32_e32 v48, 0x3ed4b147, v0
	v_fma_f32 v47, v0, s1, -v47
	;; [unrolled: 2-line block ×5, first 2 shown]
	v_add_f32_e32 v21, v21, v8
	v_add_f32_e32 v54, v0, v9
	;; [unrolled: 1-line block ×22, first 2 shown]
	v_sub_f32_e32 v41, v13, v41
	v_add_f32_e32 v1, v1, v32
	v_mul_f32_e32 v12, 0xbf68dda4, v41
	v_add_f32_e32 v1, v1, v26
	v_add_f32_e32 v0, v0, v42
	;; [unrolled: 1-line block ×3, first 2 shown]
	v_mov_b32_e32 v13, v12
	v_add_f32_e32 v1, v1, v28
	v_sub_f32_e32 v23, v23, v39
	v_fmac_f32_e32 v13, 0x3ed4b147, v42
	v_add_f32_e32 v29, v29, v8
	v_add_f32_e32 v11, v11, v8
	;; [unrolled: 1-line block ×10, first 2 shown]
	v_mul_f32_e32 v8, 0xbf68dda4, v23
	v_add_f32_e32 v13, v13, v44
	v_sub_f32_e32 v44, v10, v28
	v_add_f32_e32 v45, v45, v9
	v_add_f32_e32 v47, v47, v9
	;; [unrolled: 1-line block ×5, first 2 shown]
	v_fma_f32 v9, v21, s1, -v8
	v_add_f32_e32 v39, v3, v40
	v_add_f32_e32 v43, v10, v28
	v_mul_f32_e32 v10, 0xbf7d64f0, v44
	v_add_f32_e32 v9, v9, v29
	v_sub_f32_e32 v40, v3, v40
	v_fma_f32 v3, v39, s4, -v10
	v_sub_f32_e32 v58, v2, v26
	v_add_f32_e32 v3, v3, v9
	v_mul_f32_e32 v9, 0xbf7d64f0, v40
	v_add_f32_e32 v55, v5, v27
	v_sub_f32_e32 v56, v5, v27
	v_mul_f32_e32 v5, 0xbf4178ce, v58
	v_mov_b32_e32 v28, v9
	v_add_f32_e32 v57, v2, v26
	v_fma_f32 v2, v55, s5, -v5
	v_mul_f32_e32 v26, 0xbf4178ce, v56
	v_fmac_f32_e32 v28, 0xbe11bafb, v43
	v_add_f32_e32 v2, v2, v3
	v_mov_b32_e32 v3, v26
	v_add_f32_e32 v59, v31, v25
	v_sub_f32_e32 v60, v31, v25
	v_sub_f32_e32 v31, v4, v32
	v_fmac_f32_e32 v8, 0x3ed4b147, v21
	v_add_f32_e32 v13, v28, v13
	v_fmac_f32_e32 v3, 0xbf27a4f4, v57
	v_add_f32_e32 v61, v4, v32
	v_mul_f32_e32 v4, 0xbe903f40, v31
	v_add_f32_e32 v8, v8, v11
	v_fma_f32 v11, v42, s1, -v12
	v_fmac_f32_e32 v10, 0xbe11bafb, v39
	v_add_f32_e32 v3, v3, v13
	v_fma_f32 v13, v59, s6, -v4
	v_add_f32_e32 v11, v11, v45
	v_add_f32_e32 v8, v10, v8
	v_fma_f32 v9, v43, s4, -v9
	v_fmac_f32_e32 v5, 0xbf27a4f4, v55
	v_add_f32_e32 v2, v13, v2
	v_mul_f32_e32 v13, 0xbe903f40, v60
	v_add_f32_e32 v9, v9, v11
	v_add_f32_e32 v5, v5, v8
	v_fma_f32 v8, v57, s5, -v26
	v_fmac_f32_e32 v4, 0xbf75a155, v59
	v_add_f32_e32 v8, v8, v9
	v_add_f32_e32 v4, v4, v5
	v_fma_f32 v5, v61, s6, -v13
	v_mul_f32_e32 v10, 0xbf4178ce, v23
	v_add_f32_e32 v5, v5, v8
	v_fma_f32 v8, v21, s5, -v10
	v_mul_f32_e32 v12, 0x3e903f40, v44
	v_mov_b32_e32 v25, v13
	v_add_f32_e32 v8, v8, v33
	v_mul_f32_e32 v11, 0xbf4178ce, v41
	v_fma_f32 v13, v39, s6, -v12
	v_fmac_f32_e32 v25, 0xbf75a155, v61
	v_mov_b32_e32 v9, v11
	v_add_f32_e32 v8, v13, v8
	v_mul_f32_e32 v13, 0x3e903f40, v40
	v_add_f32_e32 v3, v25, v3
	v_fmac_f32_e32 v9, 0xbf27a4f4, v42
	v_mov_b32_e32 v25, v13
	v_add_f32_e32 v9, v9, v46
	v_fmac_f32_e32 v25, 0xbf75a155, v43
	v_add_f32_e32 v9, v25, v9
	v_mul_f32_e32 v25, 0x3f7d64f0, v58
	v_fma_f32 v26, v55, s4, -v25
	v_add_f32_e32 v8, v26, v8
	v_mul_f32_e32 v26, 0x3f7d64f0, v56
	v_mov_b32_e32 v27, v26
	v_fmac_f32_e32 v27, 0xbe11bafb, v57
	v_fmac_f32_e32 v10, 0xbf27a4f4, v21
	v_add_f32_e32 v9, v27, v9
	v_mul_f32_e32 v27, 0x3f0a6770, v31
	v_add_f32_e32 v10, v10, v30
	v_fma_f32 v11, v42, s5, -v11
	v_fmac_f32_e32 v12, 0xbf75a155, v39
	v_fma_f32 v28, v59, s0, -v27
	v_add_f32_e32 v11, v11, v47
	v_add_f32_e32 v10, v12, v10
	v_fma_f32 v12, v43, s6, -v13
	v_add_f32_e32 v8, v28, v8
	v_mul_f32_e32 v28, 0x3f0a6770, v60
	v_add_f32_e32 v11, v12, v11
	v_fmac_f32_e32 v25, 0xbe11bafb, v55
	v_fma_f32 v12, v57, s4, -v26
	v_add_f32_e32 v10, v25, v10
	v_add_f32_e32 v11, v12, v11
	v_fmac_f32_e32 v27, 0x3f575c64, v59
	v_fma_f32 v12, v61, s0, -v28
	v_mul_f32_e32 v25, 0x3e903f40, v23
	v_add_f32_e32 v10, v27, v10
	v_add_f32_e32 v11, v12, v11
	v_fma_f32 v12, v21, s6, -v25
	v_mul_f32_e32 v27, 0x3f68dda4, v44
	v_mov_b32_e32 v29, v28
	v_add_f32_e32 v12, v12, v35
	v_mul_f32_e32 v26, 0x3e903f40, v41
	v_fma_f32 v28, v39, s1, -v27
	v_fmac_f32_e32 v29, 0x3f575c64, v61
	v_mov_b32_e32 v13, v26
	v_add_f32_e32 v12, v28, v12
	v_mul_f32_e32 v28, 0x3f68dda4, v40
	v_add_f32_e32 v9, v29, v9
	v_fmac_f32_e32 v13, 0xbf75a155, v42
	v_mov_b32_e32 v29, v28
	v_add_f32_e32 v13, v13, v48
	v_fmac_f32_e32 v29, 0x3ed4b147, v43
	v_add_f32_e32 v13, v29, v13
	v_mul_f32_e32 v29, 0xbf0a6770, v58
	v_fma_f32 v30, v55, s0, -v29
	v_add_f32_e32 v12, v30, v12
	v_mul_f32_e32 v30, 0xbf0a6770, v56
	v_mov_b32_e32 v32, v30
	v_fmac_f32_e32 v32, 0x3f575c64, v57
	v_fmac_f32_e32 v25, 0xbf75a155, v21
	v_add_f32_e32 v13, v32, v13
	v_mul_f32_e32 v32, 0xbf4178ce, v31
	v_add_f32_e32 v25, v25, v34
	v_fma_f32 v26, v42, s6, -v26
	v_fmac_f32_e32 v27, 0x3ed4b147, v39
	v_fma_f32 v33, v59, s5, -v32
	v_add_f32_e32 v26, v26, v49
	v_add_f32_e32 v25, v27, v25
	v_fma_f32 v27, v43, s1, -v28
	v_add_f32_e32 v12, v33, v12
	v_mul_f32_e32 v33, 0xbf4178ce, v60
	v_add_f32_e32 v26, v27, v26
	v_fmac_f32_e32 v29, 0x3f575c64, v55
	v_fma_f32 v27, v57, s0, -v30
	v_add_f32_e32 v25, v29, v25
	v_add_f32_e32 v26, v27, v26
	v_fmac_f32_e32 v32, 0xbf27a4f4, v59
	v_fma_f32 v27, v61, s5, -v33
	v_mul_f32_e32 v29, 0x3f7d64f0, v23
	v_add_f32_e32 v25, v32, v25
	v_add_f32_e32 v26, v27, v26
	v_fma_f32 v27, v21, s4, -v29
	v_mul_f32_e32 v32, 0xbf0a6770, v44
	v_mov_b32_e32 v35, v33
	v_add_f32_e32 v27, v27, v37
	v_mul_f32_e32 v30, 0x3f7d64f0, v41
	v_fma_f32 v33, v39, s0, -v32
	v_mov_b32_e32 v28, v30
	v_add_f32_e32 v27, v33, v27
	v_mul_f32_e32 v33, 0xbf0a6770, v40
	v_fmac_f32_e32 v28, 0xbe11bafb, v42
	v_mov_b32_e32 v34, v33
	v_add_f32_e32 v28, v28, v50
	v_fmac_f32_e32 v34, 0x3f575c64, v43
	v_fmac_f32_e32 v35, 0xbf27a4f4, v61
	v_add_f32_e32 v28, v34, v28
	v_mul_f32_e32 v34, 0xbe903f40, v58
	v_add_f32_e32 v13, v35, v13
	v_fma_f32 v35, v55, s6, -v34
	v_add_f32_e32 v27, v35, v27
	v_mul_f32_e32 v35, 0xbe903f40, v56
	v_mov_b32_e32 v37, v35
	v_fmac_f32_e32 v37, 0xbf75a155, v57
	v_fmac_f32_e32 v29, 0xbe11bafb, v21
	v_add_f32_e32 v28, v37, v28
	v_mul_f32_e32 v37, 0x3f68dda4, v31
	v_add_f32_e32 v29, v29, v36
	v_fma_f32 v30, v42, s4, -v30
	v_fmac_f32_e32 v32, 0x3f575c64, v39
	v_fma_f32 v45, v59, s1, -v37
	v_add_f32_e32 v30, v30, v51
	v_add_f32_e32 v29, v32, v29
	v_fma_f32 v32, v43, s0, -v33
	v_add_f32_e32 v27, v45, v27
	v_mul_f32_e32 v45, 0x3f68dda4, v60
	v_add_f32_e32 v30, v32, v30
	v_fma_f32 v32, v57, s6, -v35
	v_add_f32_e32 v30, v32, v30
	v_fma_f32 v32, v61, s1, -v45
	v_mul_f32_e32 v23, 0x3f0a6770, v23
	v_add_f32_e32 v30, v32, v30
	v_fma_f32 v32, v21, s0, -v23
	v_mul_f32_e32 v35, 0xbf4178ce, v44
	v_fmac_f32_e32 v34, 0xbf75a155, v55
	v_add_f32_e32 v32, v32, v38
	v_mul_f32_e32 v33, 0x3f0a6770, v41
	v_fma_f32 v36, v39, s5, -v35
	v_add_f32_e32 v29, v34, v29
	v_fmac_f32_e32 v37, 0x3ed4b147, v59
	v_mov_b32_e32 v34, v33
	v_add_f32_e32 v32, v36, v32
	v_mul_f32_e32 v36, 0xbf4178ce, v40
	v_add_f32_e32 v29, v37, v29
	v_fmac_f32_e32 v34, 0x3f575c64, v42
	v_mov_b32_e32 v37, v36
	v_add_f32_e32 v34, v34, v52
	v_fmac_f32_e32 v37, 0xbf27a4f4, v43
	v_add_f32_e32 v34, v37, v34
	v_mul_f32_e32 v37, 0x3f68dda4, v58
	v_fma_f32 v38, v55, s1, -v37
	v_add_f32_e32 v32, v38, v32
	v_mul_f32_e32 v38, 0x3f68dda4, v56
	v_mov_b32_e32 v40, v38
	v_fmac_f32_e32 v40, 0x3ed4b147, v57
	v_add_f32_e32 v34, v40, v34
	v_mul_f32_e32 v40, 0xbf7d64f0, v31
	v_fmac_f32_e32 v23, 0x3f575c64, v21
	v_fma_f32 v31, v59, s4, -v40
	v_mul_f32_e32 v41, 0xbf7d64f0, v60
	v_add_f32_e32 v21, v23, v53
	v_fma_f32 v23, v42, s0, -v33
	v_add_f32_e32 v31, v31, v32
	v_mov_b32_e32 v32, v41
	v_add_f32_e32 v23, v23, v54
	v_fmac_f32_e32 v35, 0xbf27a4f4, v39
	v_fma_f32 v33, v43, s5, -v36
	v_mov_b32_e32 v46, v45
	v_fmac_f32_e32 v32, 0xbe11bafb, v61
	v_add_f32_e32 v21, v35, v21
	v_add_f32_e32 v23, v33, v23
	v_fmac_f32_e32 v37, 0x3ed4b147, v55
	v_fma_f32 v33, v57, s1, -v38
	v_fmac_f32_e32 v46, 0x3ed4b147, v61
	v_add_f32_e32 v32, v32, v34
	v_add_f32_e32 v21, v37, v21
	;; [unrolled: 1-line block ×3, first 2 shown]
	v_fmac_f32_e32 v40, 0xbe11bafb, v59
	v_fma_f32 v34, v61, s4, -v41
	v_add_f32_e32 v28, v46, v28
	v_add_f32_e32 v33, v40, v21
	;; [unrolled: 1-line block ×3, first 2 shown]
	s_waitcnt lgkmcnt(0)
	; wave barrier
	ds_write2_b64 v24, v[0:1], v[2:3] offset1:44
	ds_write2_b64 v24, v[8:9], v[12:13] offset0:88 offset1:132
	ds_write2_b64 v24, v[27:28], v[31:32] offset0:176 offset1:220
	;; [unrolled: 1-line block ×4, first 2 shown]
	ds_write_b64 v24, v[4:5] offset:3520
	s_waitcnt lgkmcnt(0)
	; wave barrier
	s_waitcnt lgkmcnt(0)
	ds_read_b64 v[4:5], v24
	v_lshlrev_b32_e32 v0, 3, v18
	v_sub_u32_e32 v8, 0, v0
	v_cmp_ne_u32_e64 s[0:1], 0, v18
                                        ; implicit-def: $vgpr1
                                        ; implicit-def: $vgpr9
                                        ; implicit-def: $vgpr2_vgpr3
	s_and_saveexec_b64 s[4:5], s[0:1]
	s_xor_b64 s[4:5], exec, s[4:5]
	s_cbranch_execz .LBB0_17
; %bb.16:
	v_mov_b32_e32 v19, 0
	v_lshlrev_b64 v[0:1], 3, v[18:19]
	v_mov_b32_e32 v2, s13
	v_add_co_u32_e64 v0, s[0:1], s12, v0
	v_addc_co_u32_e64 v1, s[0:1], v2, v1, s[0:1]
	global_load_dwordx2 v[0:1], v[0:1], off offset:3840
	ds_read_b64 v[2:3], v8 offset:3872
	s_waitcnt lgkmcnt(0)
	v_add_f32_e32 v10, v2, v4
	v_sub_f32_e32 v2, v4, v2
	v_add_f32_e32 v9, v3, v5
	v_sub_f32_e32 v3, v5, v3
	v_mul_f32_e32 v2, 0.5, v2
	v_mul_f32_e32 v4, 0.5, v9
	;; [unrolled: 1-line block ×3, first 2 shown]
	s_waitcnt vmcnt(0)
	v_mul_f32_e32 v5, v1, v2
	v_fma_f32 v9, v4, v1, v3
	v_fma_f32 v1, v4, v1, -v3
	v_fma_f32 v3, 0.5, v10, v5
	v_fmac_f32_e32 v3, v0, v4
	v_fma_f32 v9, -v0, v2, v9
	v_fma_f32 v5, v10, 0.5, -v5
	v_fma_f32 v1, -v0, v2, v1
	ds_write_b32 v24, v3
	v_mov_b32_e32 v2, v18
	v_fma_f32 v0, -v0, v4, v5
	v_mov_b32_e32 v3, v19
                                        ; implicit-def: $vgpr4_vgpr5
.LBB0_17:
	s_or_saveexec_b64 s[0:1], s[4:5]
	v_mul_i32_i24_e32 v10, 0xffffffe8, v20
	s_xor_b64 exec, exec, s[0:1]
	s_cbranch_execz .LBB0_19
; %bb.18:
	v_mov_b32_e32 v9, 0
	ds_read_b32 v1, v9 offset:1940
	v_mov_b32_e32 v2, 0
	s_waitcnt lgkmcnt(1)
	v_add_f32_e32 v11, v4, v5
	v_sub_f32_e32 v0, v4, v5
	v_mov_b32_e32 v3, 0
	s_waitcnt lgkmcnt(0)
	v_xor_b32_e32 v1, 0x80000000, v1
	ds_write_b32 v9, v1 offset:1940
	v_mov_b32_e32 v1, v9
	ds_write_b32 v24, v11
.LBB0_19:
	s_or_b64 exec, exec, s[0:1]
	v_mov_b32_e32 v21, 0
	s_waitcnt lgkmcnt(0)
	v_lshlrev_b64 v[4:5], 3, v[20:21]
	v_mov_b32_e32 v11, s13
	v_add_co_u32_e64 v4, s[0:1], s12, v4
	v_addc_co_u32_e64 v5, s[0:1], v11, v5, s[0:1]
	global_load_dwordx2 v[4:5], v[4:5], off offset:3840
	v_mov_b32_e32 v23, v21
	v_lshlrev_b64 v[11:12], 3, v[22:23]
	v_mov_b32_e32 v13, s13
	v_add_co_u32_e64 v11, s[0:1], s12, v11
	v_addc_co_u32_e64 v12, s[0:1], v13, v12, s[0:1]
	global_load_dwordx2 v[11:12], v[11:12], off offset:3840
	s_add_u32 s0, s12, 0xf00
	v_lshlrev_b64 v[2:3], 3, v[2:3]
	s_addc_u32 s1, s13, 0
	v_mov_b32_e32 v13, s1
	v_add_co_u32_e64 v2, s[0:1], s0, v2
	v_addc_co_u32_e64 v3, s[0:1], v13, v3, s[0:1]
	global_load_dwordx2 v[19:20], v[2:3], off offset:1056
	ds_write_b32 v24, v9 offset:4
	ds_write_b64 v8, v[0:1] offset:3872
	v_add_u32_e32 v6, v6, v10
	ds_read_b64 v[0:1], v6
	ds_read_b64 v[9:10], v8 offset:3520
	global_load_dwordx2 v[21:22], v[2:3], off offset:1408
	v_cmp_gt_u32_e64 s[0:1], 22, v18
	s_waitcnt lgkmcnt(0)
	v_add_f32_e32 v13, v0, v9
	v_sub_f32_e32 v0, v0, v9
	v_add_f32_e32 v23, v1, v10
	v_sub_f32_e32 v1, v1, v10
	v_mul_f32_e32 v10, 0.5, v0
	v_mul_f32_e32 v9, 0.5, v23
	;; [unrolled: 1-line block ×3, first 2 shown]
	s_waitcnt vmcnt(3)
	v_mul_f32_e32 v23, v5, v10
	v_fma_f32 v1, v9, v5, v0
	v_fma_f32 v5, v9, v5, -v0
	v_fma_f32 v0, 0.5, v13, v23
	v_fma_f32 v1, -v4, v10, v1
	v_fma_f32 v13, v13, 0.5, -v23
	v_fmac_f32_e32 v0, v4, v9
	v_fma_f32 v5, -v4, v10, v5
	v_fma_f32 v4, -v4, v9, v13
	ds_write_b64 v6, v[0:1]
	ds_write_b64 v8, v[4:5] offset:3520
	ds_read_b64 v[0:1], v7
	ds_read_b64 v[4:5], v8 offset:3168
	s_waitcnt lgkmcnt(0)
	v_add_f32_e32 v6, v0, v4
	v_sub_f32_e32 v0, v0, v4
	v_add_f32_e32 v9, v1, v5
	v_sub_f32_e32 v1, v1, v5
	v_mul_f32_e32 v5, 0.5, v0
	v_mul_f32_e32 v4, 0.5, v9
	v_mul_f32_e32 v0, 0.5, v1
	s_waitcnt vmcnt(2)
	v_mul_f32_e32 v9, v12, v5
	v_fma_f32 v1, v4, v12, v0
	v_fma_f32 v10, v4, v12, -v0
	v_fma_f32 v0, 0.5, v6, v9
	v_fma_f32 v1, -v11, v5, v1
	v_fma_f32 v6, v6, 0.5, -v9
	v_fmac_f32_e32 v0, v11, v4
	v_fma_f32 v5, -v11, v5, v10
	v_fma_f32 v4, -v11, v4, v6
	ds_write_b64 v7, v[0:1]
	ds_write_b64 v8, v[4:5] offset:3168
	ds_read_b64 v[0:1], v24 offset:1056
	ds_read_b64 v[4:5], v8 offset:2816
	s_waitcnt lgkmcnt(0)
	v_add_f32_e32 v6, v0, v4
	v_sub_f32_e32 v0, v0, v4
	v_add_f32_e32 v7, v1, v5
	v_sub_f32_e32 v1, v1, v5
	v_mul_f32_e32 v5, 0.5, v0
	v_mul_f32_e32 v4, 0.5, v7
	;; [unrolled: 1-line block ×3, first 2 shown]
	s_waitcnt vmcnt(1)
	v_mul_f32_e32 v7, v20, v5
	v_fma_f32 v1, v4, v20, v0
	v_fma_f32 v9, v4, v20, -v0
	v_fma_f32 v0, 0.5, v6, v7
	v_fma_f32 v1, -v19, v5, v1
	v_fma_f32 v6, v6, 0.5, -v7
	v_fmac_f32_e32 v0, v19, v4
	v_fma_f32 v5, -v19, v5, v9
	v_fma_f32 v4, -v19, v4, v6
	ds_write_b64 v24, v[0:1] offset:1056
	ds_write_b64 v8, v[4:5] offset:2816
	ds_read_b64 v[0:1], v24 offset:1408
	ds_read_b64 v[4:5], v8 offset:2464
	s_waitcnt lgkmcnt(0)
	v_add_f32_e32 v6, v0, v4
	v_sub_f32_e32 v0, v0, v4
	v_add_f32_e32 v7, v1, v5
	v_sub_f32_e32 v1, v1, v5
	v_mul_f32_e32 v5, 0.5, v0
	v_mul_f32_e32 v4, 0.5, v7
	;; [unrolled: 1-line block ×3, first 2 shown]
	s_waitcnt vmcnt(0)
	v_mul_f32_e32 v7, v22, v5
	v_fma_f32 v1, v4, v22, v0
	v_fma_f32 v9, v4, v22, -v0
	v_fma_f32 v0, 0.5, v6, v7
	v_fma_f32 v1, -v21, v5, v1
	v_fma_f32 v6, v6, 0.5, -v7
	v_fmac_f32_e32 v0, v21, v4
	v_fma_f32 v5, -v21, v5, v9
	v_fma_f32 v4, -v21, v4, v6
	ds_write_b64 v24, v[0:1] offset:1408
	ds_write_b64 v8, v[4:5] offset:2464
	s_and_saveexec_b64 s[4:5], s[0:1]
	s_cbranch_execz .LBB0_21
; %bb.20:
	global_load_dwordx2 v[0:1], v[2:3], off offset:1760
	ds_read_b64 v[2:3], v24 offset:1760
	ds_read_b64 v[4:5], v8 offset:2112
	s_waitcnt lgkmcnt(0)
	v_add_f32_e32 v6, v2, v4
	v_sub_f32_e32 v2, v2, v4
	v_add_f32_e32 v7, v3, v5
	v_sub_f32_e32 v3, v3, v5
	v_mul_f32_e32 v4, 0.5, v2
	v_mul_f32_e32 v5, 0.5, v7
	;; [unrolled: 1-line block ×3, first 2 shown]
	s_waitcnt vmcnt(0)
	v_mul_f32_e32 v3, v1, v4
	v_fma_f32 v7, v5, v1, v2
	v_fma_f32 v9, v5, v1, -v2
	v_fma_f32 v1, 0.5, v6, v3
	v_fma_f32 v2, -v0, v4, v7
	v_fma_f32 v3, v6, 0.5, -v3
	v_fmac_f32_e32 v1, v0, v5
	v_fma_f32 v4, -v0, v4, v9
	v_fma_f32 v3, -v0, v5, v3
	ds_write_b64 v24, v[1:2] offset:1760
	ds_write_b64 v8, v[3:4] offset:2112
.LBB0_21:
	s_or_b64 exec, exec, s[4:5]
	s_waitcnt lgkmcnt(0)
	; wave barrier
	s_waitcnt lgkmcnt(0)
	s_and_saveexec_b64 s[0:1], vcc
	s_cbranch_execz .LBB0_24
; %bb.22:
	v_mul_lo_u32 v2, s3, v16
	v_mul_lo_u32 v3, s2, v17
	v_mad_u64_u32 v[0:1], s[0:1], s2, v16, 0
	v_mov_b32_e32 v6, s11
	v_lshl_add_u32 v8, v18, 3, 0
	v_add3_u32 v1, v1, v3, v2
	v_lshlrev_b64 v[0:1], 3, v[0:1]
	v_mov_b32_e32 v19, 0
	v_add_co_u32_e32 v7, vcc, s10, v0
	v_addc_co_u32_e32 v6, vcc, v6, v1, vcc
	v_lshlrev_b64 v[0:1], 3, v[14:15]
	ds_read2_b64 v[2:5], v8 offset1:44
	v_add_co_u32_e32 v0, vcc, v7, v0
	v_addc_co_u32_e32 v1, vcc, v6, v1, vcc
	v_lshlrev_b64 v[6:7], 3, v[18:19]
	v_add_u32_e32 v9, 0x800, v8
	v_add_co_u32_e32 v6, vcc, v0, v6
	v_addc_co_u32_e32 v7, vcc, v1, v7, vcc
	s_waitcnt lgkmcnt(0)
	global_store_dwordx2 v[6:7], v[2:3], off
	v_add_u32_e32 v2, 44, v18
	v_mov_b32_e32 v3, v19
	v_lshlrev_b64 v[2:3], 3, v[2:3]
	v_add_u32_e32 v6, 0x58, v18
	v_add_co_u32_e32 v2, vcc, v0, v2
	v_addc_co_u32_e32 v3, vcc, v1, v3, vcc
	global_store_dwordx2 v[2:3], v[4:5], off
	v_mov_b32_e32 v7, v19
	ds_read2_b64 v[2:5], v8 offset0:88 offset1:132
	v_lshlrev_b64 v[6:7], 3, v[6:7]
	v_add_co_u32_e32 v6, vcc, v0, v6
	v_addc_co_u32_e32 v7, vcc, v1, v7, vcc
	s_waitcnt lgkmcnt(0)
	global_store_dwordx2 v[6:7], v[2:3], off
	v_add_u32_e32 v2, 0x84, v18
	v_mov_b32_e32 v3, v19
	v_lshlrev_b64 v[2:3], 3, v[2:3]
	v_add_u32_e32 v6, 0xb0, v18
	v_add_co_u32_e32 v2, vcc, v0, v2
	v_addc_co_u32_e32 v3, vcc, v1, v3, vcc
	global_store_dwordx2 v[2:3], v[4:5], off
	v_mov_b32_e32 v7, v19
	ds_read2_b64 v[2:5], v8 offset0:176 offset1:220
	v_lshlrev_b64 v[6:7], 3, v[6:7]
	;; [unrolled: 14-line block ×4, first 2 shown]
	v_add_co_u32_e32 v6, vcc, v0, v6
	v_addc_co_u32_e32 v7, vcc, v1, v7, vcc
	s_waitcnt lgkmcnt(0)
	global_store_dwordx2 v[6:7], v[2:3], off
	v_add_u32_e32 v2, 0x18c, v18
	v_mov_b32_e32 v3, v19
	v_lshlrev_b64 v[2:3], 3, v[2:3]
	v_add_co_u32_e32 v2, vcc, v0, v2
	v_addc_co_u32_e32 v3, vcc, v1, v3, vcc
	global_store_dwordx2 v[2:3], v[4:5], off
	v_add_u32_e32 v2, 0x1b8, v18
	v_mov_b32_e32 v3, v19
	ds_read_b64 v[4:5], v8 offset:3520
	v_lshlrev_b64 v[2:3], 3, v[2:3]
	v_add_co_u32_e32 v2, vcc, v0, v2
	v_addc_co_u32_e32 v3, vcc, v1, v3, vcc
	v_cmp_eq_u32_e32 vcc, 43, v18
	s_waitcnt lgkmcnt(0)
	global_store_dwordx2 v[2:3], v[4:5], off
	s_and_b64 exec, exec, vcc
	s_cbranch_execz .LBB0_24
; %bb.23:
	ds_read_b64 v[2:3], v19 offset:3872
	s_waitcnt lgkmcnt(0)
	global_store_dwordx2 v[0:1], v[2:3], off offset:3872
.LBB0_24:
	s_endpgm
	.section	.rodata,"a",@progbits
	.p2align	6, 0x0
	.amdhsa_kernel fft_rtc_fwd_len484_factors_4_11_11_wgs_44_tpt_44_sp_op_CI_CI_unitstride_sbrr_R2C_dirReg
		.amdhsa_group_segment_fixed_size 0
		.amdhsa_private_segment_fixed_size 0
		.amdhsa_kernarg_size 104
		.amdhsa_user_sgpr_count 6
		.amdhsa_user_sgpr_private_segment_buffer 1
		.amdhsa_user_sgpr_dispatch_ptr 0
		.amdhsa_user_sgpr_queue_ptr 0
		.amdhsa_user_sgpr_kernarg_segment_ptr 1
		.amdhsa_user_sgpr_dispatch_id 0
		.amdhsa_user_sgpr_flat_scratch_init 0
		.amdhsa_user_sgpr_private_segment_size 0
		.amdhsa_uses_dynamic_stack 0
		.amdhsa_system_sgpr_private_segment_wavefront_offset 0
		.amdhsa_system_sgpr_workgroup_id_x 1
		.amdhsa_system_sgpr_workgroup_id_y 0
		.amdhsa_system_sgpr_workgroup_id_z 0
		.amdhsa_system_sgpr_workgroup_info 0
		.amdhsa_system_vgpr_workitem_id 0
		.amdhsa_next_free_vgpr 63
		.amdhsa_next_free_sgpr 28
		.amdhsa_reserve_vcc 1
		.amdhsa_reserve_flat_scratch 0
		.amdhsa_float_round_mode_32 0
		.amdhsa_float_round_mode_16_64 0
		.amdhsa_float_denorm_mode_32 3
		.amdhsa_float_denorm_mode_16_64 3
		.amdhsa_dx10_clamp 1
		.amdhsa_ieee_mode 1
		.amdhsa_fp16_overflow 0
		.amdhsa_exception_fp_ieee_invalid_op 0
		.amdhsa_exception_fp_denorm_src 0
		.amdhsa_exception_fp_ieee_div_zero 0
		.amdhsa_exception_fp_ieee_overflow 0
		.amdhsa_exception_fp_ieee_underflow 0
		.amdhsa_exception_fp_ieee_inexact 0
		.amdhsa_exception_int_div_zero 0
	.end_amdhsa_kernel
	.text
.Lfunc_end0:
	.size	fft_rtc_fwd_len484_factors_4_11_11_wgs_44_tpt_44_sp_op_CI_CI_unitstride_sbrr_R2C_dirReg, .Lfunc_end0-fft_rtc_fwd_len484_factors_4_11_11_wgs_44_tpt_44_sp_op_CI_CI_unitstride_sbrr_R2C_dirReg
                                        ; -- End function
	.section	.AMDGPU.csdata,"",@progbits
; Kernel info:
; codeLenInByte = 8320
; NumSgprs: 32
; NumVgprs: 63
; ScratchSize: 0
; MemoryBound: 0
; FloatMode: 240
; IeeeMode: 1
; LDSByteSize: 0 bytes/workgroup (compile time only)
; SGPRBlocks: 3
; VGPRBlocks: 15
; NumSGPRsForWavesPerEU: 32
; NumVGPRsForWavesPerEU: 63
; Occupancy: 4
; WaveLimiterHint : 1
; COMPUTE_PGM_RSRC2:SCRATCH_EN: 0
; COMPUTE_PGM_RSRC2:USER_SGPR: 6
; COMPUTE_PGM_RSRC2:TRAP_HANDLER: 0
; COMPUTE_PGM_RSRC2:TGID_X_EN: 1
; COMPUTE_PGM_RSRC2:TGID_Y_EN: 0
; COMPUTE_PGM_RSRC2:TGID_Z_EN: 0
; COMPUTE_PGM_RSRC2:TIDIG_COMP_CNT: 0
	.type	__hip_cuid_c2a25ed5e8e9f766,@object ; @__hip_cuid_c2a25ed5e8e9f766
	.section	.bss,"aw",@nobits
	.globl	__hip_cuid_c2a25ed5e8e9f766
__hip_cuid_c2a25ed5e8e9f766:
	.byte	0                               ; 0x0
	.size	__hip_cuid_c2a25ed5e8e9f766, 1

	.ident	"AMD clang version 19.0.0git (https://github.com/RadeonOpenCompute/llvm-project roc-6.4.0 25133 c7fe45cf4b819c5991fe208aaa96edf142730f1d)"
	.section	".note.GNU-stack","",@progbits
	.addrsig
	.addrsig_sym __hip_cuid_c2a25ed5e8e9f766
	.amdgpu_metadata
---
amdhsa.kernels:
  - .args:
      - .actual_access:  read_only
        .address_space:  global
        .offset:         0
        .size:           8
        .value_kind:     global_buffer
      - .offset:         8
        .size:           8
        .value_kind:     by_value
      - .actual_access:  read_only
        .address_space:  global
        .offset:         16
        .size:           8
        .value_kind:     global_buffer
      - .actual_access:  read_only
        .address_space:  global
        .offset:         24
        .size:           8
        .value_kind:     global_buffer
      - .actual_access:  read_only
        .address_space:  global
        .offset:         32
        .size:           8
        .value_kind:     global_buffer
      - .offset:         40
        .size:           8
        .value_kind:     by_value
      - .actual_access:  read_only
        .address_space:  global
        .offset:         48
        .size:           8
        .value_kind:     global_buffer
      - .actual_access:  read_only
        .address_space:  global
        .offset:         56
        .size:           8
        .value_kind:     global_buffer
      - .offset:         64
        .size:           4
        .value_kind:     by_value
      - .actual_access:  read_only
        .address_space:  global
        .offset:         72
        .size:           8
        .value_kind:     global_buffer
      - .actual_access:  read_only
        .address_space:  global
        .offset:         80
        .size:           8
        .value_kind:     global_buffer
      - .actual_access:  read_only
        .address_space:  global
        .offset:         88
        .size:           8
        .value_kind:     global_buffer
      - .actual_access:  write_only
        .address_space:  global
        .offset:         96
        .size:           8
        .value_kind:     global_buffer
    .group_segment_fixed_size: 0
    .kernarg_segment_align: 8
    .kernarg_segment_size: 104
    .language:       OpenCL C
    .language_version:
      - 2
      - 0
    .max_flat_workgroup_size: 44
    .name:           fft_rtc_fwd_len484_factors_4_11_11_wgs_44_tpt_44_sp_op_CI_CI_unitstride_sbrr_R2C_dirReg
    .private_segment_fixed_size: 0
    .sgpr_count:     32
    .sgpr_spill_count: 0
    .symbol:         fft_rtc_fwd_len484_factors_4_11_11_wgs_44_tpt_44_sp_op_CI_CI_unitstride_sbrr_R2C_dirReg.kd
    .uniform_work_group_size: 1
    .uses_dynamic_stack: false
    .vgpr_count:     63
    .vgpr_spill_count: 0
    .wavefront_size: 64
amdhsa.target:   amdgcn-amd-amdhsa--gfx906
amdhsa.version:
  - 1
  - 2
...

	.end_amdgpu_metadata
